;; amdgpu-corpus repo=zjin-lcf/HeCBench kind=compiled arch=gfx1100 opt=O3
	.text
	.amdgcn_target "amdgcn-amd-amdhsa--gfx1100"
	.amdhsa_code_object_version 6
	.protected	_Z18BP_queens_root_dfsijiPK10queen_rootPyS2_ ; -- Begin function _Z18BP_queens_root_dfsijiPK10queen_rootPyS2_
	.globl	_Z18BP_queens_root_dfsijiPK10queen_rootPyS2_
	.p2align	8
	.type	_Z18BP_queens_root_dfsijiPK10queen_rootPyS2_,@function
_Z18BP_queens_root_dfsijiPK10queen_rootPyS2_: ; @_Z18BP_queens_root_dfsijiPK10queen_rootPyS2_
; %bb.0:
	s_clause 0x1
	s_load_b32 s8, s[2:3], 0x34
	s_load_b128 s[4:7], s[2:3], 0x0
	v_and_b32_e32 v3, 0x3ff, v0
	s_waitcnt lgkmcnt(0)
	s_and_b32 s7, s8, 0xffff
	s_delay_alu instid0(VALU_DEP_1) | instid1(SALU_CYCLE_1)
	v_mad_u64_u32 v[1:2], null, s15, s7, v[3:4]
	s_delay_alu instid0(VALU_DEP_1)
	v_cmp_gt_u32_e32 vcc_lo, s5, v1
	s_and_saveexec_b32 s5, vcc_lo
	s_cbranch_execz .LBB0_36
; %bb.1:
	s_load_b64 s[8:9], s[0:1], 0x4
	v_bfe_u32 v2, v0, 10, 10
	v_bfe_u32 v0, v0, 20, 10
	s_waitcnt lgkmcnt(0)
	s_lshr_b32 s0, s8, 16
	s_delay_alu instid0(VALU_DEP_2) | instskip(SKIP_4) | instid1(VALU_DEP_1)
	v_mul_u32_u24_e32 v2, s9, v2
	s_mul_i32 s0, s0, s9
	s_cmp_lt_i32 s4, 1
	v_mul_lo_u32 v3, s0, v3
	s_load_b64 s[0:1], s[2:3], 0x10
	v_add3_u32 v0, v3, v2, v0
	s_delay_alu instid0(VALU_DEP_1)
	v_mul_lo_u32 v0, v0, 20
	s_cbranch_scc1 .LBB0_7
; %bb.2:
	s_cmp_eq_u32 s4, 1
	s_mov_b32 s5, 0
	s_cbranch_scc1 .LBB0_5
; %bb.3:
	v_mov_b32_e32 v2, -1
	s_and_b32 s5, s4, 0x7ffffffe
	s_mov_b32 s7, 0
.LBB0_4:                                ; =>This Inner Loop Header: Depth=1
	s_delay_alu instid0(SALU_CYCLE_1) | instskip(SKIP_1) | instid1(SALU_CYCLE_1)
	v_add_nc_u32_e32 v3, s7, v0
	s_add_i32 s7, s7, 2
	s_cmp_lg_u32 s5, s7
	ds_store_b16 v3, v2
	s_cbranch_scc1 .LBB0_4
.LBB0_5:
	s_bitcmp0_b32 s4, 0
	s_cbranch_scc1 .LBB0_7
; %bb.6:
	s_delay_alu instid0(VALU_DEP_1)
	v_dual_mov_b32 v3, 0xff :: v_dual_add_nc_u32 v2, s5, v0
	ds_store_b8 v2, v3
.LBB0_7:
	v_ashrrev_i32_e32 v2, 31, v1
	s_load_b128 s[8:11], s[2:3], 0x18
	s_cmp_lt_i32 s6, 1
	s_delay_alu instid0(VALU_DEP_1) | instskip(SKIP_1) | instid1(VALU_DEP_1)
	v_lshlrev_b64 v[3:4], 4, v[1:2]
	s_waitcnt lgkmcnt(0)
	v_add_co_u32 v3, vcc_lo, s0, v3
	s_delay_alu instid0(VALU_DEP_2)
	v_add_co_ci_u32_e32 v4, vcc_lo, s1, v4, vcc_lo
	global_load_b32 v7, v[3:4], off
	s_cbranch_scc1 .LBB0_13
; %bb.8:
	s_cmp_eq_u32 s6, 1
	s_mov_b32 s0, 0
	s_cbranch_scc1 .LBB0_11
; %bb.9:
	v_add_co_u32 v5, vcc_lo, v3, 4
	v_add_co_ci_u32_e32 v6, vcc_lo, 0, v4, vcc_lo
	s_and_b32 s0, s6, 0x7ffffffe
	s_mov_b32 s1, 0
.LBB0_10:                               ; =>This Inner Loop Header: Depth=1
	global_load_u16 v8, v[5:6], off
	v_add_co_u32 v5, vcc_lo, v5, 2
	v_add_nc_u32_e32 v9, s1, v0
	v_add_co_ci_u32_e32 v6, vcc_lo, 0, v6, vcc_lo
	s_add_i32 s1, s1, 2
	s_delay_alu instid0(SALU_CYCLE_1)
	s_cmp_lg_u32 s0, s1
	s_waitcnt vmcnt(0)
	ds_store_b16 v9, v8
	s_cbranch_scc1 .LBB0_10
.LBB0_11:
	s_bitcmp0_b32 s6, 0
	s_cbranch_scc1 .LBB0_13
; %bb.12:
	v_add_co_u32 v3, vcc_lo, v3, s0
	v_add_co_ci_u32_e32 v4, vcc_lo, 0, v4, vcc_lo
	global_load_u8 v3, v[3:4], off offset:4
	v_add_nc_u32_e32 v4, s0, v0
	s_waitcnt vmcnt(0)
	ds_store_b8 v4, v3
.LBB0_13:
	v_dual_mov_b32 v3, 0 :: v_dual_mov_b32 v8, 0xff
	v_dual_mov_b32 v4, 0 :: v_dual_mov_b32 v9, s6
	s_mov_b32 s2, 0
	s_delay_alu instid0(VALU_DEP_1)
	v_dual_mov_b32 v6, v4 :: v_dual_mov_b32 v5, v3
	s_branch .LBB0_15
.LBB0_14:                               ;   in Loop: Header=BB0_15 Depth=1
	s_or_b32 exec_lo, exec_lo, s1
	v_cmp_gt_i32_e32 vcc_lo, s6, v9
	s_or_b32 s2, vcc_lo, s2
	s_delay_alu instid0(SALU_CYCLE_1)
	s_and_not1_b32 exec_lo, exec_lo, s2
	s_cbranch_execz .LBB0_35
.LBB0_15:                               ; =>This Loop Header: Depth=1
                                        ;     Child Loop BB0_23 Depth 2
                                        ;     Child Loop BB0_26 Depth 2
	s_delay_alu instid0(VALU_DEP_2)
	v_add_nc_u32_e32 v11, v0, v9
	s_mov_b32 s0, 0
	s_mov_b32 s1, exec_lo
	ds_load_u8 v10, v11
	s_waitcnt lgkmcnt(0)
	v_add_nc_u16 v12, v10, 1
	s_delay_alu instid0(VALU_DEP_1)
	v_bfe_i32 v10, v12, 0, 8
	ds_store_b8 v11, v12
	v_cmpx_ne_u32_e64 s4, v10
	s_xor_b32 s3, exec_lo, s1
	s_cbranch_execnz .LBB0_18
; %bb.16:                               ;   in Loop: Header=BB0_15 Depth=1
	s_or_saveexec_b32 s1, s3
	v_mov_b32_e32 v10, s4
	s_xor_b32 exec_lo, exec_lo, s1
	s_cbranch_execnz .LBB0_33
.LBB0_17:                               ;   in Loop: Header=BB0_15 Depth=1
	s_or_b32 exec_lo, exec_lo, s1
	s_and_saveexec_b32 s1, s0
	s_cbranch_execz .LBB0_14
	s_branch .LBB0_34
.LBB0_18:                               ;   in Loop: Header=BB0_15 Depth=1
	s_waitcnt vmcnt(0)
	v_bfe_u32 v11, v7, v10, 1
	s_mov_b32 s5, exec_lo
	s_delay_alu instid0(VALU_DEP_1)
	v_cmpx_eq_u32_e32 0, v11
	s_cbranch_execz .LBB0_32
; %bb.19:                               ;   in Loop: Header=BB0_15 Depth=1
	v_cmp_lt_i32_e32 vcc_lo, 0, v9
	s_mov_b32 s7, -1
	s_and_saveexec_b32 s12, vcc_lo
	s_cbranch_execnz .LBB0_22
; %bb.20:                               ;   in Loop: Header=BB0_15 Depth=1
	s_or_b32 exec_lo, exec_lo, s12
	v_add_nc_u32_e32 v11, 1, v9
	s_and_saveexec_b32 s12, vcc_lo
	s_cbranch_execnz .LBB0_25
.LBB0_21:                               ;   in Loop: Header=BB0_15 Depth=1
	s_or_b32 exec_lo, exec_lo, s12
	s_mov_b32 s1, 0
	s_and_saveexec_b32 s0, s7
	s_cbranch_execnz .LBB0_28
	s_branch .LBB0_31
.LBB0_22:                               ;   in Loop: Header=BB0_15 Depth=1
	v_dual_mov_b32 v12, v9 :: v_dual_and_b32 v11, 0xff, v12
	v_mov_b32_e32 v13, v0
	s_mov_b32 s13, -1
	s_mov_b32 s7, 0
                                        ; implicit-def: $sgpr14
.LBB0_23:                               ;   Parent Loop BB0_15 Depth=1
                                        ; =>  This Inner Loop Header: Depth=2
	ds_load_u8 v14, v13
	v_add_nc_u32_e32 v12, -1, v12
	v_add_nc_u32_e32 v13, 1, v13
	s_delay_alu instid0(VALU_DEP_2) | instskip(SKIP_2) | instid1(VALU_DEP_1)
	v_cmp_eq_u32_e64 s1, 0, v12
	s_waitcnt lgkmcnt(0)
	v_cmp_ne_u16_e64 s0, v14, v11
	s_and_b32 s13, s0, s13
	s_delay_alu instid0(VALU_DEP_2) | instskip(SKIP_2) | instid1(SALU_CYCLE_1)
	s_or_b32 s7, s1, s7
	s_and_not1_b32 s0, s14, exec_lo
	s_and_b32 s1, s13, exec_lo
	s_or_b32 s14, s0, s1
	s_and_not1_b32 exec_lo, exec_lo, s7
	s_cbranch_execnz .LBB0_23
; %bb.24:                               ;   in Loop: Header=BB0_15 Depth=1
	s_or_b32 exec_lo, exec_lo, s7
	s_delay_alu instid0(SALU_CYCLE_1)
	s_or_not1_b32 s7, s14, exec_lo
	s_or_b32 exec_lo, exec_lo, s12
	v_add_nc_u32_e32 v11, 1, v9
	s_and_saveexec_b32 s12, vcc_lo
	s_cbranch_execz .LBB0_21
.LBB0_25:                               ;   in Loop: Header=BB0_15 Depth=1
	v_add_nc_u32_e32 v12, 1, v9
	v_add_nc_u32_e32 v13, 1, v10
	v_add_nc_u32_e32 v14, -1, v10
	s_mov_b32 s13, 0
	s_mov_b32 s15, s7
                                        ; implicit-def: $sgpr14
	.p2align	6
.LBB0_26:                               ;   Parent Loop BB0_15 Depth=1
                                        ; =>  This Inner Loop Header: Depth=2
	v_add3_u32 v15, v0, v12, -2
	v_add_nc_u32_e32 v12, -1, v12
	ds_load_u8 v15, v15
	v_cmp_gt_u32_e64 s1, 2, v12
	s_waitcnt lgkmcnt(0)
	v_bfe_i32 v15, v15, 0, 8
	s_delay_alu instid0(VALU_DEP_1) | instskip(SKIP_3) | instid1(VALU_DEP_3)
	v_cmp_ne_u32_e32 vcc_lo, v14, v15
	v_cmp_ne_u32_e64 s0, v13, v15
	v_add_nc_u32_e32 v13, 1, v13
	v_add_nc_u32_e32 v14, -1, v14
	s_and_b32 s0, vcc_lo, s0
	s_delay_alu instid0(SALU_CYCLE_1) | instskip(SKIP_3) | instid1(SALU_CYCLE_1)
	s_and_b32 s15, s0, s15
	s_or_b32 s13, s1, s13
	s_and_not1_b32 s0, s14, exec_lo
	s_and_b32 s1, s15, exec_lo
	s_or_b32 s14, s0, s1
	s_and_not1_b32 exec_lo, exec_lo, s13
	s_cbranch_execnz .LBB0_26
; %bb.27:                               ;   in Loop: Header=BB0_15 Depth=1
	s_or_b32 exec_lo, exec_lo, s13
	s_delay_alu instid0(SALU_CYCLE_1) | instskip(SKIP_1) | instid1(SALU_CYCLE_1)
	s_and_not1_b32 s0, s7, exec_lo
	s_and_b32 s1, s14, exec_lo
	s_or_b32 s7, s0, s1
	s_or_b32 exec_lo, exec_lo, s12
	s_mov_b32 s1, 0
	s_and_saveexec_b32 s0, s7
	s_cbranch_execz .LBB0_31
.LBB0_28:                               ;   in Loop: Header=BB0_15 Depth=1
	v_lshlrev_b64 v[9:10], v10, 1
	v_add_co_u32 v5, vcc_lo, v5, 1
	v_add_co_ci_u32_e32 v6, vcc_lo, 0, v6, vcc_lo
	s_mov_b32 s7, exec_lo
	s_delay_alu instid0(VALU_DEP_3)
	v_or_b32_e32 v7, v7, v9
	v_cmpx_eq_u32_e64 s4, v11
	s_xor_b32 s7, exec_lo, s7
; %bb.29:                               ;   in Loop: Header=BB0_15 Depth=1
	v_add_co_u32 v3, vcc_lo, v3, 1
	s_mov_b32 s1, exec_lo
	v_add_co_ci_u32_e32 v4, vcc_lo, 0, v4, vcc_lo
                                        ; implicit-def: $vgpr11
; %bb.30:                               ;   in Loop: Header=BB0_15 Depth=1
	s_or_b32 exec_lo, exec_lo, s7
	v_mov_b32_e32 v9, v11
	s_and_b32 s1, s1, exec_lo
.LBB0_31:                               ;   in Loop: Header=BB0_15 Depth=1
	s_or_b32 exec_lo, exec_lo, s0
	s_delay_alu instid0(SALU_CYCLE_1)
	s_and_b32 s0, s1, exec_lo
.LBB0_32:                               ;   in Loop: Header=BB0_15 Depth=1
	s_or_b32 exec_lo, exec_lo, s5
	s_delay_alu instid0(SALU_CYCLE_1)
	s_and_b32 s0, s0, exec_lo
                                        ; implicit-def: $vgpr11
	s_or_saveexec_b32 s1, s3
	v_mov_b32_e32 v10, s4
	s_xor_b32 exec_lo, exec_lo, s1
	s_cbranch_execz .LBB0_17
.LBB0_33:                               ;   in Loop: Header=BB0_15 Depth=1
	v_mov_b32_e32 v10, v9
	s_or_b32 s0, s0, exec_lo
	ds_store_b8 v11, v8
                                        ; implicit-def: $vgpr9
	s_or_b32 exec_lo, exec_lo, s1
	s_and_saveexec_b32 s1, s0
	s_cbranch_execz .LBB0_14
.LBB0_34:                               ;   in Loop: Header=BB0_15 Depth=1
	v_add_nc_u32_e32 v9, -1, v10
	s_delay_alu instid0(VALU_DEP_1) | instskip(SKIP_3) | instid1(VALU_DEP_1)
	v_add_nc_u32_e32 v10, v0, v9
	ds_load_i8 v10, v10
	s_waitcnt lgkmcnt(0)
	v_lshlrev_b64 v[10:11], v10, 1
	v_not_b32_e32 v10, v10
	s_waitcnt vmcnt(0)
	s_delay_alu instid0(VALU_DEP_1)
	v_and_b32_e32 v7, v7, v10
	s_branch .LBB0_14
.LBB0_35:
	s_or_b32 exec_lo, exec_lo, s2
	v_lshlrev_b64 v[0:1], 3, v[1:2]
	s_waitcnt vmcnt(0)
	s_delay_alu instid0(VALU_DEP_1) | instskip(NEXT) | instid1(VALU_DEP_2)
	v_add_co_u32 v7, vcc_lo, s10, v0
	v_add_co_ci_u32_e32 v8, vcc_lo, s11, v1, vcc_lo
	v_add_co_u32 v0, vcc_lo, s8, v0
	v_add_co_ci_u32_e32 v1, vcc_lo, s9, v1, vcc_lo
	global_store_b64 v[7:8], v[3:4], off
	global_store_b64 v[0:1], v[5:6], off
.LBB0_36:
	s_nop 0
	s_sendmsg sendmsg(MSG_DEALLOC_VGPRS)
	s_endpgm
	.section	.rodata,"a",@progbits
	.p2align	6, 0x0
	.amdhsa_kernel _Z18BP_queens_root_dfsijiPK10queen_rootPyS2_
		.amdhsa_group_segment_fixed_size 20480
		.amdhsa_private_segment_fixed_size 0
		.amdhsa_kernarg_size 296
		.amdhsa_user_sgpr_count 15
		.amdhsa_user_sgpr_dispatch_ptr 1
		.amdhsa_user_sgpr_queue_ptr 0
		.amdhsa_user_sgpr_kernarg_segment_ptr 1
		.amdhsa_user_sgpr_dispatch_id 0
		.amdhsa_user_sgpr_private_segment_size 0
		.amdhsa_wavefront_size32 1
		.amdhsa_uses_dynamic_stack 0
		.amdhsa_enable_private_segment 0
		.amdhsa_system_sgpr_workgroup_id_x 1
		.amdhsa_system_sgpr_workgroup_id_y 0
		.amdhsa_system_sgpr_workgroup_id_z 0
		.amdhsa_system_sgpr_workgroup_info 0
		.amdhsa_system_vgpr_workitem_id 2
		.amdhsa_next_free_vgpr 16
		.amdhsa_next_free_sgpr 16
		.amdhsa_reserve_vcc 1
		.amdhsa_float_round_mode_32 0
		.amdhsa_float_round_mode_16_64 0
		.amdhsa_float_denorm_mode_32 3
		.amdhsa_float_denorm_mode_16_64 3
		.amdhsa_dx10_clamp 1
		.amdhsa_ieee_mode 1
		.amdhsa_fp16_overflow 0
		.amdhsa_workgroup_processor_mode 1
		.amdhsa_memory_ordered 1
		.amdhsa_forward_progress 0
		.amdhsa_shared_vgpr_count 0
		.amdhsa_exception_fp_ieee_invalid_op 0
		.amdhsa_exception_fp_denorm_src 0
		.amdhsa_exception_fp_ieee_div_zero 0
		.amdhsa_exception_fp_ieee_overflow 0
		.amdhsa_exception_fp_ieee_underflow 0
		.amdhsa_exception_fp_ieee_inexact 0
		.amdhsa_exception_int_div_zero 0
	.end_amdhsa_kernel
	.text
.Lfunc_end0:
	.size	_Z18BP_queens_root_dfsijiPK10queen_rootPyS2_, .Lfunc_end0-_Z18BP_queens_root_dfsijiPK10queen_rootPyS2_
                                        ; -- End function
	.section	.AMDGPU.csdata,"",@progbits
; Kernel info:
; codeLenInByte = 1228
; NumSgprs: 18
; NumVgprs: 16
; ScratchSize: 0
; MemoryBound: 0
; FloatMode: 240
; IeeeMode: 1
; LDSByteSize: 20480 bytes/workgroup (compile time only)
; SGPRBlocks: 2
; VGPRBlocks: 1
; NumSGPRsForWavesPerEU: 18
; NumVGPRsForWavesPerEU: 16
; Occupancy: 16
; WaveLimiterHint : 0
; COMPUTE_PGM_RSRC2:SCRATCH_EN: 0
; COMPUTE_PGM_RSRC2:USER_SGPR: 15
; COMPUTE_PGM_RSRC2:TRAP_HANDLER: 0
; COMPUTE_PGM_RSRC2:TGID_X_EN: 1
; COMPUTE_PGM_RSRC2:TGID_Y_EN: 0
; COMPUTE_PGM_RSRC2:TGID_Z_EN: 0
; COMPUTE_PGM_RSRC2:TIDIG_COMP_CNT: 2
	.text
	.p2alignl 7, 3214868480
	.fill 96, 4, 3214868480
	.type	__hip_cuid_241c4e7cdafbbc7b,@object ; @__hip_cuid_241c4e7cdafbbc7b
	.section	.bss,"aw",@nobits
	.globl	__hip_cuid_241c4e7cdafbbc7b
__hip_cuid_241c4e7cdafbbc7b:
	.byte	0                               ; 0x0
	.size	__hip_cuid_241c4e7cdafbbc7b, 1

	.ident	"AMD clang version 19.0.0git (https://github.com/RadeonOpenCompute/llvm-project roc-6.4.0 25133 c7fe45cf4b819c5991fe208aaa96edf142730f1d)"
	.section	".note.GNU-stack","",@progbits
	.addrsig
	.addrsig_sym __hip_cuid_241c4e7cdafbbc7b
	.amdgpu_metadata
---
amdhsa.kernels:
  - .args:
      - .offset:         0
        .size:           4
        .value_kind:     by_value
      - .offset:         4
        .size:           4
        .value_kind:     by_value
      - .offset:         8
        .size:           4
        .value_kind:     by_value
      - .actual_access:  read_only
        .address_space:  global
        .offset:         16
        .size:           8
        .value_kind:     global_buffer
      - .actual_access:  write_only
        .address_space:  global
        .offset:         24
        .size:           8
        .value_kind:     global_buffer
      - .actual_access:  write_only
        .address_space:  global
        .offset:         32
        .size:           8
        .value_kind:     global_buffer
      - .offset:         40
        .size:           4
        .value_kind:     hidden_block_count_x
      - .offset:         44
        .size:           4
        .value_kind:     hidden_block_count_y
      - .offset:         48
        .size:           4
        .value_kind:     hidden_block_count_z
      - .offset:         52
        .size:           2
        .value_kind:     hidden_group_size_x
      - .offset:         54
        .size:           2
        .value_kind:     hidden_group_size_y
      - .offset:         56
        .size:           2
        .value_kind:     hidden_group_size_z
      - .offset:         58
        .size:           2
        .value_kind:     hidden_remainder_x
      - .offset:         60
        .size:           2
        .value_kind:     hidden_remainder_y
      - .offset:         62
        .size:           2
        .value_kind:     hidden_remainder_z
      - .offset:         80
        .size:           8
        .value_kind:     hidden_global_offset_x
      - .offset:         88
        .size:           8
        .value_kind:     hidden_global_offset_y
      - .offset:         96
        .size:           8
        .value_kind:     hidden_global_offset_z
      - .offset:         104
        .size:           2
        .value_kind:     hidden_grid_dims
    .group_segment_fixed_size: 20480
    .kernarg_segment_align: 8
    .kernarg_segment_size: 296
    .language:       OpenCL C
    .language_version:
      - 2
      - 0
    .max_flat_workgroup_size: 1024
    .name:           _Z18BP_queens_root_dfsijiPK10queen_rootPyS2_
    .private_segment_fixed_size: 0
    .sgpr_count:     18
    .sgpr_spill_count: 0
    .symbol:         _Z18BP_queens_root_dfsijiPK10queen_rootPyS2_.kd
    .uniform_work_group_size: 1
    .uses_dynamic_stack: false
    .vgpr_count:     16
    .vgpr_spill_count: 0
    .wavefront_size: 32
    .workgroup_processor_mode: 1
amdhsa.target:   amdgcn-amd-amdhsa--gfx1100
amdhsa.version:
  - 1
  - 2
...

	.end_amdgpu_metadata
